;; amdgpu-corpus repo=ROCm/rocFFT kind=compiled arch=gfx1030 opt=O3
	.text
	.amdgcn_target "amdgcn-amd-amdhsa--gfx1030"
	.amdhsa_code_object_version 6
	.protected	fft_rtc_fwd_len1584_factors_4_2_2_11_3_3_wgs_176_tpt_176_halfLds_sp_ip_CI_unitstride_sbrr_dirReg ; -- Begin function fft_rtc_fwd_len1584_factors_4_2_2_11_3_3_wgs_176_tpt_176_halfLds_sp_ip_CI_unitstride_sbrr_dirReg
	.globl	fft_rtc_fwd_len1584_factors_4_2_2_11_3_3_wgs_176_tpt_176_halfLds_sp_ip_CI_unitstride_sbrr_dirReg
	.p2align	8
	.type	fft_rtc_fwd_len1584_factors_4_2_2_11_3_3_wgs_176_tpt_176_halfLds_sp_ip_CI_unitstride_sbrr_dirReg,@function
fft_rtc_fwd_len1584_factors_4_2_2_11_3_3_wgs_176_tpt_176_halfLds_sp_ip_CI_unitstride_sbrr_dirReg: ; @fft_rtc_fwd_len1584_factors_4_2_2_11_3_3_wgs_176_tpt_176_halfLds_sp_ip_CI_unitstride_sbrr_dirReg
; %bb.0:
	s_clause 0x2
	s_load_dwordx4 s[8:11], s[4:5], 0x0
	s_load_dwordx2 s[2:3], s[4:5], 0x50
	s_load_dwordx2 s[12:13], s[4:5], 0x18
	v_mul_u32_u24_e32 v1, 0x175, v0
	v_mov_b32_e32 v3, 0
	v_add_nc_u32_sdwa v5, s6, v1 dst_sel:DWORD dst_unused:UNUSED_PAD src0_sel:DWORD src1_sel:WORD_1
	v_mov_b32_e32 v1, 0
	v_mov_b32_e32 v6, v3
	v_mov_b32_e32 v2, 0
	s_waitcnt lgkmcnt(0)
	v_cmp_lt_u64_e64 s0, s[10:11], 2
	s_and_b32 vcc_lo, exec_lo, s0
	s_cbranch_vccnz .LBB0_8
; %bb.1:
	s_load_dwordx2 s[0:1], s[4:5], 0x10
	v_mov_b32_e32 v1, 0
	s_add_u32 s6, s12, 8
	v_mov_b32_e32 v2, 0
	s_addc_u32 s7, s13, 0
	s_mov_b64 s[16:17], 1
	s_waitcnt lgkmcnt(0)
	s_add_u32 s14, s0, 8
	s_addc_u32 s15, s1, 0
.LBB0_2:                                ; =>This Inner Loop Header: Depth=1
	s_load_dwordx2 s[18:19], s[14:15], 0x0
                                        ; implicit-def: $vgpr7_vgpr8
	s_mov_b32 s0, exec_lo
	s_waitcnt lgkmcnt(0)
	v_or_b32_e32 v4, s19, v6
	v_cmpx_ne_u64_e32 0, v[3:4]
	s_xor_b32 s1, exec_lo, s0
	s_cbranch_execz .LBB0_4
; %bb.3:                                ;   in Loop: Header=BB0_2 Depth=1
	v_cvt_f32_u32_e32 v4, s18
	v_cvt_f32_u32_e32 v7, s19
	s_sub_u32 s0, 0, s18
	s_subb_u32 s20, 0, s19
	v_fmac_f32_e32 v4, 0x4f800000, v7
	v_rcp_f32_e32 v4, v4
	v_mul_f32_e32 v4, 0x5f7ffffc, v4
	v_mul_f32_e32 v7, 0x2f800000, v4
	v_trunc_f32_e32 v7, v7
	v_fmac_f32_e32 v4, 0xcf800000, v7
	v_cvt_u32_f32_e32 v7, v7
	v_cvt_u32_f32_e32 v4, v4
	v_mul_lo_u32 v8, s0, v7
	v_mul_hi_u32 v9, s0, v4
	v_mul_lo_u32 v10, s20, v4
	v_add_nc_u32_e32 v8, v9, v8
	v_mul_lo_u32 v9, s0, v4
	v_add_nc_u32_e32 v8, v8, v10
	v_mul_hi_u32 v10, v4, v9
	v_mul_lo_u32 v11, v4, v8
	v_mul_hi_u32 v12, v4, v8
	v_mul_hi_u32 v13, v7, v9
	v_mul_lo_u32 v9, v7, v9
	v_mul_hi_u32 v14, v7, v8
	v_mul_lo_u32 v8, v7, v8
	v_add_co_u32 v10, vcc_lo, v10, v11
	v_add_co_ci_u32_e32 v11, vcc_lo, 0, v12, vcc_lo
	v_add_co_u32 v9, vcc_lo, v10, v9
	v_add_co_ci_u32_e32 v9, vcc_lo, v11, v13, vcc_lo
	v_add_co_ci_u32_e32 v10, vcc_lo, 0, v14, vcc_lo
	v_add_co_u32 v8, vcc_lo, v9, v8
	v_add_co_ci_u32_e32 v9, vcc_lo, 0, v10, vcc_lo
	v_add_co_u32 v4, vcc_lo, v4, v8
	v_add_co_ci_u32_e32 v7, vcc_lo, v7, v9, vcc_lo
	v_mul_hi_u32 v8, s0, v4
	v_mul_lo_u32 v10, s20, v4
	v_mul_lo_u32 v9, s0, v7
	v_add_nc_u32_e32 v8, v8, v9
	v_mul_lo_u32 v9, s0, v4
	v_add_nc_u32_e32 v8, v8, v10
	v_mul_hi_u32 v10, v4, v9
	v_mul_lo_u32 v11, v4, v8
	v_mul_hi_u32 v12, v4, v8
	v_mul_hi_u32 v13, v7, v9
	v_mul_lo_u32 v9, v7, v9
	v_mul_hi_u32 v14, v7, v8
	v_mul_lo_u32 v8, v7, v8
	v_add_co_u32 v10, vcc_lo, v10, v11
	v_add_co_ci_u32_e32 v11, vcc_lo, 0, v12, vcc_lo
	v_add_co_u32 v9, vcc_lo, v10, v9
	v_add_co_ci_u32_e32 v9, vcc_lo, v11, v13, vcc_lo
	v_add_co_ci_u32_e32 v10, vcc_lo, 0, v14, vcc_lo
	v_add_co_u32 v8, vcc_lo, v9, v8
	v_add_co_ci_u32_e32 v9, vcc_lo, 0, v10, vcc_lo
	v_add_co_u32 v4, vcc_lo, v4, v8
	v_add_co_ci_u32_e32 v11, vcc_lo, v7, v9, vcc_lo
	v_mul_hi_u32 v13, v5, v4
	v_mad_u64_u32 v[9:10], null, v6, v4, 0
	v_mad_u64_u32 v[7:8], null, v5, v11, 0
	;; [unrolled: 1-line block ×3, first 2 shown]
	v_add_co_u32 v4, vcc_lo, v13, v7
	v_add_co_ci_u32_e32 v7, vcc_lo, 0, v8, vcc_lo
	v_add_co_u32 v4, vcc_lo, v4, v9
	v_add_co_ci_u32_e32 v4, vcc_lo, v7, v10, vcc_lo
	v_add_co_ci_u32_e32 v7, vcc_lo, 0, v12, vcc_lo
	v_add_co_u32 v4, vcc_lo, v4, v11
	v_add_co_ci_u32_e32 v9, vcc_lo, 0, v7, vcc_lo
	v_mul_lo_u32 v10, s19, v4
	v_mad_u64_u32 v[7:8], null, s18, v4, 0
	v_mul_lo_u32 v11, s18, v9
	v_sub_co_u32 v7, vcc_lo, v5, v7
	v_add3_u32 v8, v8, v11, v10
	v_sub_nc_u32_e32 v10, v6, v8
	v_subrev_co_ci_u32_e64 v10, s0, s19, v10, vcc_lo
	v_add_co_u32 v11, s0, v4, 2
	v_add_co_ci_u32_e64 v12, s0, 0, v9, s0
	v_sub_co_u32 v13, s0, v7, s18
	v_sub_co_ci_u32_e32 v8, vcc_lo, v6, v8, vcc_lo
	v_subrev_co_ci_u32_e64 v10, s0, 0, v10, s0
	v_cmp_le_u32_e32 vcc_lo, s18, v13
	v_cmp_eq_u32_e64 s0, s19, v8
	v_cndmask_b32_e64 v13, 0, -1, vcc_lo
	v_cmp_le_u32_e32 vcc_lo, s19, v10
	v_cndmask_b32_e64 v14, 0, -1, vcc_lo
	v_cmp_le_u32_e32 vcc_lo, s18, v7
	;; [unrolled: 2-line block ×3, first 2 shown]
	v_cndmask_b32_e64 v15, 0, -1, vcc_lo
	v_cmp_eq_u32_e32 vcc_lo, s19, v10
	v_cndmask_b32_e64 v7, v15, v7, s0
	v_cndmask_b32_e32 v10, v14, v13, vcc_lo
	v_add_co_u32 v13, vcc_lo, v4, 1
	v_add_co_ci_u32_e32 v14, vcc_lo, 0, v9, vcc_lo
	v_cmp_ne_u32_e32 vcc_lo, 0, v10
	v_cndmask_b32_e32 v8, v14, v12, vcc_lo
	v_cndmask_b32_e32 v10, v13, v11, vcc_lo
	v_cmp_ne_u32_e32 vcc_lo, 0, v7
	v_cndmask_b32_e32 v8, v9, v8, vcc_lo
	v_cndmask_b32_e32 v7, v4, v10, vcc_lo
.LBB0_4:                                ;   in Loop: Header=BB0_2 Depth=1
	s_andn2_saveexec_b32 s0, s1
	s_cbranch_execz .LBB0_6
; %bb.5:                                ;   in Loop: Header=BB0_2 Depth=1
	v_cvt_f32_u32_e32 v4, s18
	s_sub_i32 s1, 0, s18
	v_rcp_iflag_f32_e32 v4, v4
	v_mul_f32_e32 v4, 0x4f7ffffe, v4
	v_cvt_u32_f32_e32 v4, v4
	v_mul_lo_u32 v7, s1, v4
	v_mul_hi_u32 v7, v4, v7
	v_add_nc_u32_e32 v4, v4, v7
	v_mul_hi_u32 v4, v5, v4
	v_mul_lo_u32 v7, v4, s18
	v_add_nc_u32_e32 v8, 1, v4
	v_sub_nc_u32_e32 v7, v5, v7
	v_subrev_nc_u32_e32 v9, s18, v7
	v_cmp_le_u32_e32 vcc_lo, s18, v7
	v_cndmask_b32_e32 v7, v7, v9, vcc_lo
	v_cndmask_b32_e32 v4, v4, v8, vcc_lo
	v_cmp_le_u32_e32 vcc_lo, s18, v7
	v_add_nc_u32_e32 v8, 1, v4
	v_cndmask_b32_e32 v7, v4, v8, vcc_lo
	v_mov_b32_e32 v8, v3
.LBB0_6:                                ;   in Loop: Header=BB0_2 Depth=1
	s_or_b32 exec_lo, exec_lo, s0
	s_load_dwordx2 s[0:1], s[6:7], 0x0
	v_mul_lo_u32 v4, v8, s18
	v_mul_lo_u32 v11, v7, s19
	v_mad_u64_u32 v[9:10], null, v7, s18, 0
	s_add_u32 s16, s16, 1
	s_addc_u32 s17, s17, 0
	s_add_u32 s6, s6, 8
	s_addc_u32 s7, s7, 0
	;; [unrolled: 2-line block ×3, first 2 shown]
	v_add3_u32 v4, v10, v11, v4
	v_sub_co_u32 v5, vcc_lo, v5, v9
	v_sub_co_ci_u32_e32 v4, vcc_lo, v6, v4, vcc_lo
	s_waitcnt lgkmcnt(0)
	v_mul_lo_u32 v6, s1, v5
	v_mul_lo_u32 v4, s0, v4
	v_mad_u64_u32 v[1:2], null, s0, v5, v[1:2]
	v_cmp_ge_u64_e64 s0, s[16:17], s[10:11]
	s_and_b32 vcc_lo, exec_lo, s0
	v_add3_u32 v2, v6, v2, v4
	s_cbranch_vccnz .LBB0_9
; %bb.7:                                ;   in Loop: Header=BB0_2 Depth=1
	v_mov_b32_e32 v5, v7
	v_mov_b32_e32 v6, v8
	s_branch .LBB0_2
.LBB0_8:
	v_mov_b32_e32 v8, v6
	v_mov_b32_e32 v7, v5
.LBB0_9:
	s_lshl_b64 s[0:1], s[10:11], 3
	v_mul_hi_u32 v3, 0x1745d18, v0
	s_add_u32 s0, s12, s0
	s_addc_u32 s1, s13, s1
	v_mov_b32_e32 v13, 0
	s_load_dwordx2 s[0:1], s[0:1], 0x0
	s_load_dwordx2 s[4:5], s[4:5], 0x20
	v_mov_b32_e32 v12, 0
	v_mov_b32_e32 v23, 0
                                        ; implicit-def: $vgpr19
                                        ; implicit-def: $vgpr11
                                        ; implicit-def: $vgpr9
                                        ; implicit-def: $vgpr15
                                        ; implicit-def: $vgpr17
                                        ; implicit-def: $vgpr21
                                        ; implicit-def: $vgpr29
                                        ; implicit-def: $vgpr25
	v_mul_u32_u24_e32 v3, 0xb0, v3
	v_sub_nc_u32_e32 v0, v0, v3
	s_waitcnt lgkmcnt(0)
	v_mul_lo_u32 v4, s0, v8
	v_mul_lo_u32 v5, s1, v7
	v_mad_u64_u32 v[1:2], null, s0, v7, v[1:2]
	v_cmp_gt_u64_e32 vcc_lo, s[4:5], v[7:8]
                                        ; implicit-def: $vgpr7
	v_add3_u32 v2, v5, v2, v4
                                        ; implicit-def: $vgpr5
	v_lshlrev_b64 v[2:3], 3, v[1:2]
	v_mov_b32_e32 v1, 0
	s_and_saveexec_b32 s1, vcc_lo
	s_cbranch_execz .LBB0_13
; %bb.10:
	v_mov_b32_e32 v1, 0
	v_add_co_u32 v6, s0, s2, v2
	v_add_co_ci_u32_e64 v7, s0, s3, v3, s0
	v_lshlrev_b64 v[4:5], 3, v[0:1]
	v_mov_b32_e32 v23, v1
	s_mov_b32 s4, exec_lo
                                        ; implicit-def: $vgpr24
                                        ; implicit-def: $vgpr28
	v_add_co_u32 v25, s0, v6, v4
	v_add_co_ci_u32_e64 v26, s0, v7, v5, s0
	v_add_co_u32 v12, s0, 0x1800, v25
	v_add_co_ci_u32_e64 v13, s0, 0, v26, s0
	;; [unrolled: 2-line block ×6, first 2 shown]
	s_clause 0x7
	global_load_dwordx2 v[6:7], v[25:26], off
	global_load_dwordx2 v[10:11], v[12:13], off offset:192
	global_load_dwordx2 v[18:19], v[29:30], off offset:1120
	;; [unrolled: 1-line block ×7, first 2 shown]
	v_mov_b32_e32 v12, v1
	v_mov_b32_e32 v13, v1
	v_cmpx_gt_u32_e32 44, v0
	s_cbranch_execz .LBB0_12
; %bb.11:
	v_add_co_u32 v24, s0, 0x3000, v25
	v_add_co_ci_u32_e64 v25, s0, 0, v26, s0
	s_clause 0x3
	global_load_dwordx2 v[22:23], v[31:32], off offset:1888
	global_load_dwordx2 v[12:13], v[29:30], off offset:768
	;; [unrolled: 1-line block ×4, first 2 shown]
	s_waitcnt vmcnt(3)
	v_mov_b32_e32 v1, v22
.LBB0_12:
	s_or_b32 exec_lo, exec_lo, s4
.LBB0_13:
	s_or_b32 exec_lo, exec_lo, s1
	s_waitcnt vmcnt(6)
	v_sub_f32_e32 v10, v6, v10
	s_waitcnt vmcnt(1)
	v_sub_f32_e32 v8, v18, v8
	v_sub_f32_e32 v34, v19, v9
	s_waitcnt vmcnt(0)
	v_sub_f32_e32 v9, v14, v20
	v_sub_f32_e32 v4, v16, v4
	v_fma_f32 v6, v6, 2.0, -v10
	v_fma_f32 v22, v18, 2.0, -v8
	v_sub_f32_e32 v28, v12, v28
	v_sub_f32_e32 v18, v1, v24
	;; [unrolled: 1-line block ×3, first 2 shown]
	v_fma_f32 v14, v14, 2.0, -v9
	v_sub_f32_e32 v26, v6, v22
	v_fma_f32 v5, v16, 2.0, -v4
	v_fma_f32 v16, v12, 2.0, -v28
	;; [unrolled: 1-line block ×3, first 2 shown]
	v_sub_f32_e32 v12, v23, v25
	v_sub_f32_e32 v27, v10, v34
	v_fma_f32 v30, v6, 2.0, -v26
	v_sub_f32_e32 v32, v14, v5
	v_sub_f32_e32 v33, v9, v20
	;; [unrolled: 1-line block ×4, first 2 shown]
	v_add_nc_u32_e32 v22, 0xb0, v0
	v_add_nc_u32_e32 v39, 0x160, v0
	v_fma_f32 v31, v10, 2.0, -v27
	v_fma_f32 v35, v14, 2.0, -v32
	;; [unrolled: 1-line block ×5, first 2 shown]
	v_lshl_add_u32 v24, v0, 4, 0
	v_lshl_add_u32 v16, v22, 4, 0
	v_cmp_gt_u32_e64 s0, 44, v0
	v_lshl_add_u32 v14, v39, 4, 0
	ds_write2_b64 v24, v[30:31], v[26:27] offset1:1
	ds_write2_b64 v16, v[35:36], v[32:33] offset1:1
	s_and_saveexec_b32 s1, s0
	s_cbranch_execz .LBB0_15
; %bb.14:
	ds_write2_b64 v14, v[9:10], v[5:6] offset1:1
.LBB0_15:
	s_or_b32 exec_lo, exec_lo, s1
	v_mad_i32_i24 v1, v0, -12, v24
	s_waitcnt lgkmcnt(0)
	s_barrier
	buffer_gl0_inv
	v_cmp_gt_u32_e64 s1, 0x58, v0
	v_add_nc_u32_e32 v6, 0xc00, v1
	v_add_nc_u32_e32 v25, 0x500, v1
	;; [unrolled: 1-line block ×3, first 2 shown]
	ds_read2_b32 v[30:31], v1 offset1:176
	ds_read2_b32 v[27:28], v6 offset0:24 offset1:200
	ds_read2_b32 v[32:33], v25 offset0:32 offset1:208
	;; [unrolled: 1-line block ×3, first 2 shown]
	s_and_saveexec_b32 s4, s1
	s_cbranch_execz .LBB0_17
; %bb.16:
	ds_read_b32 v9, v1 offset:2816
	ds_read_b32 v10, v1 offset:5984
.LBB0_17:
	s_or_b32 exec_lo, exec_lo, s4
	v_sub_f32_e32 v6, v7, v11
	v_sub_f32_e32 v21, v15, v21
	;; [unrolled: 1-line block ×3, first 2 shown]
	v_fma_f32 v11, v19, 2.0, -v34
	v_fma_f32 v17, v17, 2.0, -v20
	;; [unrolled: 1-line block ×6, first 2 shown]
	v_add_f32_e32 v20, v6, v8
	v_sub_f32_e32 v19, v36, v11
	v_add_f32_e32 v8, v29, v18
	v_sub_f32_e32 v34, v12, v17
	v_sub_f32_e32 v7, v13, v7
	v_add_f32_e32 v35, v21, v4
	v_fma_f32 v17, v36, 2.0, -v19
	v_fma_f32 v18, v6, 2.0, -v20
	;; [unrolled: 1-line block ×6, first 2 shown]
	s_waitcnt lgkmcnt(0)
	s_barrier
	buffer_gl0_inv
	ds_write2_b64 v24, v[17:18], v[19:20] offset1:1
	ds_write2_b64 v16, v[36:37], v[34:35] offset1:1
	s_and_saveexec_b32 s4, s0
	s_cbranch_execz .LBB0_19
; %bb.18:
	ds_write2_b64 v14, v[11:12], v[7:8] offset1:1
.LBB0_19:
	s_or_b32 exec_lo, exec_lo, s4
	v_add_nc_u32_e32 v4, 0xc00, v1
	v_add_nc_u32_e32 v6, 0x500, v1
	;; [unrolled: 1-line block ×3, first 2 shown]
	s_waitcnt lgkmcnt(0)
	s_barrier
	buffer_gl0_inv
	ds_read2_b32 v[13:14], v1 offset1:176
	ds_read2_b32 v[17:18], v4 offset0:24 offset1:200
	ds_read2_b32 v[15:16], v6 offset0:32 offset1:208
	;; [unrolled: 1-line block ×3, first 2 shown]
	s_and_saveexec_b32 s0, s1
	s_cbranch_execz .LBB0_21
; %bb.20:
	ds_read_b32 v11, v1 offset:2816
	ds_read_b32 v12, v1 offset:5984
.LBB0_21:
	s_or_b32 exec_lo, exec_lo, s0
	v_and_b32_e32 v29, 3, v0
	v_add_nc_u32_e32 v21, 0x2c0, v0
	v_lshlrev_b32_e32 v6, 1, v22
	v_lshlrev_b32_e32 v8, 1, v39
	;; [unrolled: 1-line block ×4, first 2 shown]
	v_and_or_b32 v23, 0x3f8, v6, v29
	v_and_or_b32 v24, 0x7f8, v8, v29
	global_load_dwordx2 v[37:38], v4, s[8:9]
	v_lshlrev_b32_e32 v4, 1, v0
	v_lshl_add_u32 v45, v23, 2, 0
	v_lshl_add_u32 v46, v24, 2, 0
	s_waitcnt vmcnt(0) lgkmcnt(0)
	s_barrier
	v_add_nc_u32_e32 v43, 0x420, v4
	v_and_or_b32 v22, 0x1f8, v4, v29
	buffer_gl0_inv
	v_and_or_b32 v21, 0x7f8, v43, v29
	v_lshl_add_u32 v42, v22, 2, 0
	v_lshl_add_u32 v47, v21, 2, 0
	v_mul_f32_e32 v21, v17, v38
	v_mul_f32_e32 v34, v12, v38
	;; [unrolled: 1-line block ×5, first 2 shown]
	v_fma_f32 v21, v27, v37, -v21
	v_fma_f32 v34, v10, v37, -v34
	;; [unrolled: 1-line block ×5, first 2 shown]
	v_sub_f32_e32 v21, v30, v21
	v_sub_f32_e32 v41, v9, v34
	;; [unrolled: 1-line block ×5, first 2 shown]
	v_fma_f32 v30, v30, 2.0, -v21
	v_fma_f32 v44, v9, 2.0, -v41
	;; [unrolled: 1-line block ×5, first 2 shown]
	ds_write2_b32 v42, v30, v21 offset1:4
	ds_write2_b32 v45, v31, v22 offset1:4
	ds_write2_b32 v46, v32, v23 offset1:4
	ds_write2_b32 v47, v33, v24 offset1:4
	s_and_saveexec_b32 s0, s1
	s_cbranch_execz .LBB0_23
; %bb.22:
	v_and_or_b32 v9, 0x7f8, v40, v29
	v_lshl_add_u32 v9, v9, 2, 0
	ds_write2_b32 v9, v44, v41 offset1:4
.LBB0_23:
	s_or_b32 exec_lo, exec_lo, s0
	v_add_nc_u32_e32 v9, 0xc00, v1
	v_add_nc_u32_e32 v21, 0x500, v1
	;; [unrolled: 1-line block ×3, first 2 shown]
	s_waitcnt lgkmcnt(0)
	s_barrier
	buffer_gl0_inv
	ds_read2_b32 v[33:34], v1 offset1:176
	ds_read2_b32 v[23:24], v9 offset0:24 offset1:200
	ds_read2_b32 v[35:36], v21 offset0:32 offset1:208
	;; [unrolled: 1-line block ×3, first 2 shown]
	s_and_saveexec_b32 s0, s1
	s_cbranch_execz .LBB0_25
; %bb.24:
	ds_read_b32 v44, v1 offset:2816
	ds_read_b32 v41, v1 offset:5984
.LBB0_25:
	s_or_b32 exec_lo, exec_lo, s0
	v_mul_f32_e32 v9, v27, v38
	v_mul_f32_e32 v10, v10, v38
	;; [unrolled: 1-line block ×5, first 2 shown]
	v_fmac_f32_e32 v9, v17, v37
	v_fmac_f32_e32 v10, v12, v37
	;; [unrolled: 1-line block ×5, first 2 shown]
	v_sub_f32_e32 v9, v13, v9
	v_sub_f32_e32 v38, v11, v10
	;; [unrolled: 1-line block ×5, first 2 shown]
	v_fma_f32 v10, v13, 2.0, -v9
	v_fma_f32 v37, v11, 2.0, -v38
	;; [unrolled: 1-line block ×5, first 2 shown]
	s_waitcnt lgkmcnt(0)
	s_barrier
	buffer_gl0_inv
	ds_write2_b32 v42, v10, v9 offset1:4
	ds_write2_b32 v45, v13, v12 offset1:4
	;; [unrolled: 1-line block ×4, first 2 shown]
	s_and_saveexec_b32 s0, s1
	s_cbranch_execz .LBB0_27
; %bb.26:
	v_and_or_b32 v9, 0x7f8, v40, v29
	v_lshl_add_u32 v9, v9, 2, 0
	ds_write2_b32 v9, v37, v38 offset1:4
.LBB0_27:
	s_or_b32 exec_lo, exec_lo, s0
	v_add_nc_u32_e32 v9, 0xc00, v1
	v_add_nc_u32_e32 v11, 0x500, v1
	;; [unrolled: 1-line block ×3, first 2 shown]
	s_waitcnt lgkmcnt(0)
	s_barrier
	buffer_gl0_inv
	ds_read2_b32 v[25:26], v1 offset1:176
	ds_read2_b32 v[9:10], v9 offset0:24 offset1:200
	ds_read2_b32 v[27:28], v11 offset0:32 offset1:208
	;; [unrolled: 1-line block ×3, first 2 shown]
	s_and_saveexec_b32 s0, s1
	s_cbranch_execz .LBB0_29
; %bb.28:
	ds_read_b32 v37, v1 offset:2816
	ds_read_b32 v38, v1 offset:5984
.LBB0_29:
	s_or_b32 exec_lo, exec_lo, s0
	v_and_b32_e32 v42, 7, v0
	v_lshlrev_b32_e32 v11, 3, v42
	v_and_or_b32 v12, 0x3f0, v6, v42
	v_and_or_b32 v13, 0x7f0, v8, v42
	;; [unrolled: 1-line block ×3, first 2 shown]
	global_load_dwordx2 v[31:32], v11, s[8:9] offset:32
	v_and_or_b32 v11, 0x1f0, v4, v42
	v_lshl_add_u32 v45, v12, 2, 0
	v_lshl_add_u32 v46, v13, 2, 0
	;; [unrolled: 1-line block ×3, first 2 shown]
	s_waitcnt vmcnt(0) lgkmcnt(0)
	v_lshl_add_u32 v43, v11, 2, 0
	s_barrier
	buffer_gl0_inv
	v_mul_f32_e32 v11, v9, v32
	v_mul_f32_e32 v12, v10, v32
	;; [unrolled: 1-line block ×5, first 2 shown]
	v_fma_f32 v11, v23, v31, -v11
	v_fma_f32 v16, v24, v31, -v12
	;; [unrolled: 1-line block ×5, first 2 shown]
	v_sub_f32_e32 v12, v33, v11
	v_sub_f32_e32 v20, v34, v16
	v_sub_f32_e32 v18, v35, v13
	v_sub_f32_e32 v16, v36, v14
	v_sub_f32_e32 v14, v44, v15
	v_fma_f32 v11, v33, 2.0, -v12
	v_fma_f32 v19, v34, 2.0, -v20
	;; [unrolled: 1-line block ×5, first 2 shown]
	ds_write2_b32 v43, v11, v12 offset1:8
	ds_write2_b32 v45, v19, v20 offset1:8
	;; [unrolled: 1-line block ×4, first 2 shown]
	s_and_saveexec_b32 s0, s1
	s_cbranch_execz .LBB0_31
; %bb.30:
	v_and_or_b32 v33, 0x7f0, v40, v42
	v_lshl_add_u32 v33, v33, 2, 0
	ds_write2_b32 v33, v13, v14 offset1:8
.LBB0_31:
	s_or_b32 exec_lo, exec_lo, s0
	v_cmp_gt_u32_e64 s0, 0x90, v0
	s_waitcnt lgkmcnt(0)
	s_barrier
	buffer_gl0_inv
	s_and_saveexec_b32 s4, s0
	s_cbranch_execz .LBB0_33
; %bb.32:
	v_add_nc_u32_e32 v5, 0x400, v1
	v_add_nc_u32_e32 v13, 0x800, v1
	;; [unrolled: 1-line block ×4, first 2 shown]
	ds_read2_b32 v[11:12], v1 offset1:144
	ds_read2_b32 v[19:20], v5 offset0:32 offset1:176
	ds_read2_b32 v[17:18], v13 offset0:64 offset1:208
	;; [unrolled: 1-line block ×3, first 2 shown]
	ds_read2_b32 v[13:14], v33 offset1:144
	ds_read_b32 v5, v1 offset:5760
.LBB0_33:
	s_or_b32 exec_lo, exec_lo, s4
	v_mul_f32_e32 v23, v23, v32
	v_mul_f32_e32 v24, v24, v32
	;; [unrolled: 1-line block ×5, first 2 shown]
	v_fmac_f32_e32 v23, v9, v31
	v_fmac_f32_e32 v24, v10, v31
	v_fmac_f32_e32 v21, v29, v31
	v_fmac_f32_e32 v22, v30, v31
	v_fmac_f32_e32 v33, v38, v31
	v_sub_f32_e32 v10, v25, v23
	v_sub_f32_e32 v32, v26, v24
	;; [unrolled: 1-line block ×5, first 2 shown]
	v_fma_f32 v9, v25, 2.0, -v10
	v_fma_f32 v31, v26, 2.0, -v32
	;; [unrolled: 1-line block ×5, first 2 shown]
	s_waitcnt lgkmcnt(0)
	s_barrier
	buffer_gl0_inv
	ds_write2_b32 v43, v9, v10 offset1:8
	ds_write2_b32 v45, v31, v32 offset1:8
	;; [unrolled: 1-line block ×4, first 2 shown]
	s_and_saveexec_b32 s4, s1
	s_cbranch_execz .LBB0_35
; %bb.34:
	v_and_or_b32 v25, 0x7f0, v40, v42
	v_lshl_add_u32 v25, v25, 2, 0
	ds_write2_b32 v25, v21, v22 offset1:8
.LBB0_35:
	s_or_b32 exec_lo, exec_lo, s4
	s_waitcnt lgkmcnt(0)
	s_barrier
	buffer_gl0_inv
	s_and_saveexec_b32 s1, s0
	s_cbranch_execz .LBB0_37
; %bb.36:
	v_add_nc_u32_e32 v7, 0x400, v1
	v_add_nc_u32_e32 v21, 0x800, v1
	;; [unrolled: 1-line block ×4, first 2 shown]
	ds_read2_b32 v[9:10], v1 offset1:144
	ds_read2_b32 v[31:32], v7 offset0:32 offset1:176
	ds_read2_b32 v[29:30], v21 offset0:64 offset1:208
	;; [unrolled: 1-line block ×3, first 2 shown]
	ds_read2_b32 v[21:22], v25 offset1:144
	ds_read_b32 v7, v1 offset:5760
.LBB0_37:
	s_or_b32 exec_lo, exec_lo, s1
	v_and_b32_e32 v25, 15, v0
	v_mul_u32_u24_e32 v26, 10, v25
	v_lshlrev_b32_e32 v26, 3, v26
	s_clause 0x4
	global_load_dwordx4 v[34:37], v26, s[8:9] offset:96
	global_load_dwordx4 v[43:46], v26, s[8:9] offset:112
	global_load_dwordx4 v[47:50], v26, s[8:9] offset:128
	global_load_dwordx4 v[51:54], v26, s[8:9] offset:144
	global_load_dwordx4 v[55:58], v26, s[8:9] offset:160
	s_waitcnt vmcnt(0) lgkmcnt(0)
	s_barrier
	buffer_gl0_inv
	v_mul_f32_e32 v40, v10, v35
	v_mul_f32_e32 v41, v12, v35
	;; [unrolled: 1-line block ×13, first 2 shown]
	v_fma_f32 v42, v12, v34, -v40
	v_fmac_f32_e32 v41, v10, v34
	v_fma_f32 v40, v19, v36, -v35
	v_fmac_f32_e32 v38, v31, v36
	v_mul_f32_e32 v31, v16, v52
	v_mul_f32_e32 v10, v21, v54
	;; [unrolled: 1-line block ×4, first 2 shown]
	v_fma_f32 v35, v20, v43, -v37
	v_mul_f32_e32 v36, v14, v56
	v_mul_f32_e32 v20, v7, v58
	;; [unrolled: 1-line block ×3, first 2 shown]
	v_fmac_f32_e32 v33, v32, v43
	v_fma_f32 v32, v17, v45, -v44
	v_fmac_f32_e32 v28, v29, v45
	v_fma_f32 v18, v18, v47, -v46
	;; [unrolled: 2-line block ×7, first 2 shown]
	v_fmac_f32_e32 v37, v7, v57
	v_lshrrev_b32_e32 v5, 4, v0
	s_and_saveexec_b32 s1, s0
	s_cbranch_execz .LBB0_39
; %bb.38:
	v_sub_f32_e32 v7, v41, v37
	v_add_f32_e32 v10, v42, v30
	v_sub_f32_e32 v13, v38, v36
	v_add_f32_e32 v12, v40, v29
	v_sub_f32_e32 v16, v33, v34
	v_mul_f32_e32 v15, 0xbe903f40, v7
	v_add_f32_e32 v14, v35, v24
	v_mul_f32_e32 v21, 0x3f0a6770, v13
	v_sub_f32_e32 v20, v28, v31
	v_mul_f32_e32 v45, 0xbf4178ce, v16
	v_fmamk_f32 v22, v10, 0xbf75a155, v15
	v_fma_f32 v15, 0xbf75a155, v10, -v15
	v_fmamk_f32 v46, v12, 0x3f575c64, v21
	v_fma_f32 v21, 0x3f575c64, v12, -v21
	v_fmamk_f32 v49, v14, 0xbf27a4f4, v45
	v_add_f32_e32 v22, v11, v22
	v_add_f32_e32 v15, v11, v15
	v_add_f32_e32 v17, v32, v23
	v_sub_f32_e32 v44, v26, v27
	v_mul_f32_e32 v47, 0x3f68dda4, v20
	v_add_f32_e32 v22, v46, v22
	v_mul_f32_e32 v46, 0xbf4178ce, v7
	v_fma_f32 v45, 0xbf27a4f4, v14, -v45
	v_add_f32_e32 v15, v21, v15
	v_mul_f32_e32 v21, 0x3f7d64f0, v13
	v_add_f32_e32 v22, v49, v22
	v_fmamk_f32 v49, v10, 0xbf27a4f4, v46
	v_add_f32_e32 v43, v18, v19
	v_mul_f32_e32 v48, 0xbf7d64f0, v44
	v_fmamk_f32 v50, v17, 0x3ed4b147, v47
	v_add_f32_e32 v15, v45, v15
	v_fma_f32 v45, 0x3ed4b147, v17, -v47
	v_add_f32_e32 v47, v11, v49
	v_fmamk_f32 v49, v12, 0xbe11bafb, v21
	v_mul_f32_e32 v51, 0xbf0a6770, v16
	v_add_f32_e32 v22, v50, v22
	v_fmamk_f32 v50, v43, 0xbe11bafb, v48
	v_fma_f32 v46, 0xbf27a4f4, v10, -v46
	v_add_f32_e32 v15, v45, v15
	v_add_f32_e32 v45, v49, v47
	v_fmamk_f32 v47, v14, 0x3f575c64, v51
	v_mul_f32_e32 v49, 0xbe903f40, v20
	v_add_f32_e32 v22, v50, v22
	v_add_f32_e32 v46, v11, v46
	v_fma_f32 v21, 0xbe11bafb, v12, -v21
	v_fma_f32 v48, 0xbe11bafb, v43, -v48
	v_add_f32_e32 v45, v47, v45
	v_fmamk_f32 v47, v17, 0xbf75a155, v49
	v_mul_f32_e32 v50, 0x3f68dda4, v44
	v_add_f32_e32 v21, v21, v46
	v_fma_f32 v46, 0x3f575c64, v14, -v51
	v_add_f32_e32 v15, v48, v15
	v_mul_f32_e32 v48, 0xbf7d64f0, v7
	v_add_f32_e32 v45, v47, v45
	v_fmamk_f32 v47, v43, 0x3ed4b147, v50
	v_add_f32_e32 v21, v46, v21
	v_fma_f32 v46, 0xbf75a155, v17, -v49
	v_fmamk_f32 v49, v10, 0xbe11bafb, v48
	v_mul_f32_e32 v51, 0x3e903f40, v13
	v_add_f32_e32 v45, v47, v45
	v_fma_f32 v47, 0xbe11bafb, v10, -v48
	v_add_f32_e32 v21, v46, v21
	v_add_f32_e32 v46, v11, v49
	v_fmamk_f32 v48, v12, 0xbf75a155, v51
	v_mul_f32_e32 v49, 0x3f68dda4, v16
	v_add_f32_e32 v47, v11, v47
	v_fma_f32 v51, 0xbf75a155, v12, -v51
	v_fma_f32 v50, 0x3ed4b147, v43, -v50
	v_add_f32_e32 v46, v48, v46
	v_fmamk_f32 v48, v14, 0x3ed4b147, v49
	v_mul_f32_e32 v52, 0xbf0a6770, v20
	v_add_f32_e32 v47, v51, v47
	v_fma_f32 v49, 0x3ed4b147, v14, -v49
	v_add_f32_e32 v21, v50, v21
	v_mul_f32_e32 v50, 0xbf68dda4, v7
	v_add_f32_e32 v46, v48, v46
	v_fmamk_f32 v48, v17, 0x3f575c64, v52
	v_add_f32_e32 v47, v49, v47
	v_fma_f32 v49, 0x3f575c64, v17, -v52
	v_fmamk_f32 v51, v10, 0x3ed4b147, v50
	v_mul_f32_e32 v52, 0xbf4178ce, v13
	v_mul_f32_e32 v53, 0x3e903f40, v16
	v_fma_f32 v50, 0x3ed4b147, v10, -v50
	v_add_f32_e32 v47, v49, v47
	v_add_f32_e32 v49, v11, v51
	v_fmamk_f32 v51, v12, 0xbf27a4f4, v52
	v_fma_f32 v52, 0xbf27a4f4, v12, -v52
	v_add_f32_e32 v50, v11, v50
	v_add_f32_e32 v46, v48, v46
	v_mul_f32_e32 v48, 0xbf4178ce, v44
	v_add_f32_e32 v49, v51, v49
	v_fmamk_f32 v51, v14, 0xbf75a155, v53
	v_add_f32_e32 v50, v52, v50
	v_fma_f32 v52, 0xbf75a155, v14, -v53
	v_mul_f32_e32 v7, 0xbf0a6770, v7
	v_fma_f32 v54, 0xbf27a4f4, v43, -v48
	v_add_f32_e32 v49, v51, v49
	v_add_f32_e32 v51, v11, v42
	;; [unrolled: 1-line block ×3, first 2 shown]
	v_fmamk_f32 v52, v10, 0x3f575c64, v7
	v_fma_f32 v7, 0x3f575c64, v10, -v7
	v_add_f32_e32 v47, v54, v47
	v_add_f32_e32 v51, v51, v40
	v_mul_f32_e32 v54, 0x3f7d64f0, v20
	v_mul_f32_e32 v13, 0xbf68dda4, v13
	;; [unrolled: 1-line block ×3, first 2 shown]
	v_add_f32_e32 v7, v11, v7
	v_add_f32_e32 v51, v51, v35
	v_fmamk_f32 v55, v17, 0xbe11bafb, v54
	v_fma_f32 v54, 0xbe11bafb, v17, -v54
	v_mul_f32_e32 v56, 0x3f0a6770, v44
	v_fmamk_f32 v48, v43, 0xbf27a4f4, v48
	v_add_f32_e32 v10, v51, v32
	v_add_f32_e32 v51, v11, v52
	v_fma_f32 v11, 0x3ed4b147, v12, -v13
	v_fmamk_f32 v52, v12, 0x3ed4b147, v13
	v_add_f32_e32 v12, v54, v50
	v_add_f32_e32 v10, v10, v18
	v_fmamk_f32 v50, v14, 0xbe11bafb, v16
	v_add_f32_e32 v7, v11, v7
	v_fma_f32 v11, 0xbe11bafb, v14, -v16
	v_mul_f32_e32 v14, 0xbf4178ce, v20
	v_add_f32_e32 v10, v10, v19
	v_add_f32_e32 v13, v52, v51
	v_mul_f32_e32 v20, 0xbe903f40, v44
	v_add_f32_e32 v7, v11, v7
	v_fma_f32 v11, 0xbf27a4f4, v17, -v14
	v_add_f32_e32 v10, v10, v23
	v_mul_u32_u24_e32 v44, 0xb0, v5
	v_add_f32_e32 v13, v50, v13
	v_fmamk_f32 v14, v17, 0xbf27a4f4, v14
	v_add_f32_e32 v7, v11, v7
	v_add_f32_e32 v10, v10, v24
	v_fma_f32 v11, 0xbf75a155, v43, -v20
	v_or_b32_e32 v17, v44, v25
	v_fma_f32 v16, 0x3f575c64, v43, -v56
	v_add_f32_e32 v49, v55, v49
	v_add_f32_e32 v10, v10, v29
	v_fmamk_f32 v53, v43, 0x3f575c64, v56
	v_add_f32_e32 v13, v14, v13
	v_fmamk_f32 v14, v43, 0xbf75a155, v20
	v_add_f32_e32 v7, v11, v7
	v_add_f32_e32 v10, v10, v30
	v_lshl_add_u32 v11, v17, 2, 0
	v_add_f32_e32 v12, v16, v12
	v_add_f32_e32 v16, v48, v46
	;; [unrolled: 1-line block ×4, first 2 shown]
	ds_write2_b32 v11, v10, v7 offset1:16
	ds_write2_b32 v11, v12, v47 offset0:32 offset1:48
	ds_write2_b32 v11, v21, v15 offset0:64 offset1:80
	;; [unrolled: 1-line block ×4, first 2 shown]
	ds_write_b32 v11, v13 offset:640
.LBB0_39:
	s_or_b32 exec_lo, exec_lo, s1
	v_add_nc_u32_e32 v7, 0x500, v1
	v_add_nc_u32_e32 v21, 0x1000, v1
	;; [unrolled: 1-line block ×3, first 2 shown]
	s_waitcnt lgkmcnt(0)
	s_barrier
	buffer_gl0_inv
	ds_read2_b32 v[12:13], v1 offset1:176
	ds_read2_b32 v[10:11], v7 offset0:32 offset1:208
	ds_read2_b32 v[16:17], v21 offset0:32 offset1:208
	;; [unrolled: 1-line block ×3, first 2 shown]
	ds_read_b32 v22, v1 offset:5632
	s_waitcnt lgkmcnt(0)
	s_barrier
	buffer_gl0_inv
	s_and_saveexec_b32 s1, s0
	s_cbranch_execz .LBB0_41
; %bb.40:
	v_add_f32_e32 v43, v9, v41
	v_sub_f32_e32 v30, v42, v30
	v_add_f32_e32 v42, v38, v36
	v_add_f32_e32 v41, v41, v37
	v_sub_f32_e32 v29, v40, v29
	v_add_f32_e32 v38, v43, v38
	v_mul_f32_e32 v43, 0xbf68dda4, v30
	v_mul_f32_e32 v44, 0xbf7d64f0, v30
	;; [unrolled: 1-line block ×4, first 2 shown]
	v_add_f32_e32 v38, v38, v33
	v_fmamk_f32 v50, v41, 0x3ed4b147, v43
	v_fma_f32 v43, 0x3ed4b147, v41, -v43
	v_mul_f32_e32 v45, 0xbf4178ce, v30
	v_mul_f32_e32 v30, 0xbe903f40, v30
	v_add_f32_e32 v38, v38, v28
	v_mul_f32_e32 v48, 0x3e903f40, v29
	v_fmamk_f32 v51, v41, 0xbe11bafb, v44
	v_fma_f32 v44, 0xbe11bafb, v41, -v44
	v_add_f32_e32 v43, v9, v43
	v_add_f32_e32 v38, v38, v26
	v_mul_f32_e32 v46, 0xbf68dda4, v29
	v_fmamk_f32 v49, v41, 0x3f575c64, v40
	v_fmamk_f32 v52, v41, 0xbf27a4f4, v45
	v_fma_f32 v45, 0xbf27a4f4, v41, -v45
	v_add_f32_e32 v38, v38, v27
	v_fmamk_f32 v53, v41, 0xbf75a155, v30
	v_fmamk_f32 v54, v42, 0xbf27a4f4, v47
	v_add_f32_e32 v44, v9, v44
	v_sub_f32_e32 v24, v35, v24
	v_add_f32_e32 v38, v38, v31
	v_fma_f32 v40, 0x3f575c64, v41, -v40
	v_fma_f32 v30, 0xbf75a155, v41, -v30
	v_fmamk_f32 v41, v42, 0x3ed4b147, v46
	v_add_f32_e32 v49, v9, v49
	v_add_f32_e32 v38, v38, v34
	;; [unrolled: 1-line block ×3, first 2 shown]
	v_mul_f32_e32 v34, 0xbf7d64f0, v24
	v_fma_f32 v46, 0x3ed4b147, v42, -v46
	v_add_f32_e32 v40, v9, v40
	v_add_f32_e32 v36, v38, v36
	;; [unrolled: 1-line block ×7, first 2 shown]
	v_fma_f32 v37, 0xbf27a4f4, v42, -v47
	v_fma_f32 v47, 0xbf75a155, v42, -v48
	v_add_f32_e32 v52, v9, v52
	v_add_f32_e32 v9, v9, v30
	;; [unrolled: 1-line block ×4, first 2 shown]
	v_mul_f32_e32 v43, 0x3f7d64f0, v29
	v_mul_f32_e32 v29, 0x3f0a6770, v29
	v_add_f32_e32 v44, v47, v44
	v_fmamk_f32 v41, v42, 0xbf75a155, v48
	v_add_f32_e32 v40, v46, v40
	v_fmamk_f32 v35, v42, 0xbe11bafb, v43
	v_fma_f32 v43, 0xbe11bafb, v42, -v43
	v_fmamk_f32 v47, v42, 0x3f575c64, v29
	v_fma_f32 v29, 0x3f575c64, v42, -v29
	v_add_f32_e32 v41, v41, v51
	v_sub_f32_e32 v23, v32, v23
	v_add_f32_e32 v38, v43, v38
	v_add_f32_e32 v42, v47, v45
	v_fmamk_f32 v43, v33, 0xbe11bafb, v34
	v_mul_f32_e32 v45, 0x3e903f40, v24
	v_add_f32_e32 v9, v29, v9
	v_fma_f32 v29, 0xbe11bafb, v33, -v34
	v_mul_f32_e32 v34, 0x3f68dda4, v24
	v_add_f32_e32 v30, v43, v30
	v_fmamk_f32 v43, v33, 0xbf75a155, v45
	v_fma_f32 v45, 0xbf75a155, v33, -v45
	v_add_f32_e32 v29, v29, v40
	v_fmamk_f32 v40, v33, 0x3ed4b147, v34
	v_add_f32_e32 v35, v35, v52
	v_fma_f32 v34, 0x3ed4b147, v33, -v34
	v_add_f32_e32 v37, v45, v37
	v_mul_f32_e32 v45, 0xbf0a6770, v24
	v_add_f32_e32 v40, v40, v41
	v_mul_f32_e32 v24, 0xbf4178ce, v24
	;; [unrolled: 2-line block ×3, first 2 shown]
	v_fmamk_f32 v32, v33, 0x3f575c64, v45
	v_fma_f32 v41, 0x3f575c64, v33, -v45
	v_add_f32_e32 v46, v54, v50
	v_add_f32_e32 v34, v34, v44
	v_fmamk_f32 v44, v33, 0xbf27a4f4, v24
	v_add_f32_e32 v32, v32, v35
	v_add_f32_e32 v35, v41, v38
	v_fma_f32 v24, 0xbf27a4f4, v33, -v24
	v_fmamk_f32 v33, v28, 0xbf27a4f4, v31
	v_mul_f32_e32 v41, 0x3f7d64f0, v23
	v_fma_f32 v31, 0xbf27a4f4, v28, -v31
	v_add_f32_e32 v43, v43, v46
	v_add_f32_e32 v9, v24, v9
	;; [unrolled: 1-line block ×3, first 2 shown]
	v_mul_f32_e32 v30, 0xbf0a6770, v23
	v_fmamk_f32 v33, v28, 0xbe11bafb, v41
	v_add_f32_e32 v29, v31, v29
	v_mul_f32_e32 v31, 0xbe903f40, v23
	v_mul_f32_e32 v23, 0x3f68dda4, v23
	v_add_f32_e32 v38, v44, v42
	v_add_f32_e32 v33, v33, v43
	v_sub_f32_e32 v18, v18, v19
	v_fmamk_f32 v43, v28, 0xbf75a155, v31
	v_fma_f32 v19, 0xbf75a155, v28, -v31
	v_fmamk_f32 v31, v28, 0x3ed4b147, v23
	v_fma_f32 v41, 0xbe11bafb, v28, -v41
	;; [unrolled: 2-line block ×3, first 2 shown]
	v_fma_f32 v23, 0x3ed4b147, v28, -v23
	v_add_f32_e32 v26, v26, v27
	v_mul_f32_e32 v27, 0xbe903f40, v18
	v_add_f32_e32 v28, v31, v38
	v_mul_f32_e32 v31, 0x3f0a6770, v18
	v_add_f32_e32 v19, v19, v35
	v_add_f32_e32 v9, v23, v9
	v_fmamk_f32 v23, v26, 0xbf75a155, v27
	v_fma_f32 v27, 0xbf75a155, v26, -v27
	v_fmamk_f32 v35, v26, 0x3f575c64, v31
	v_mul_u32_u24_e32 v5, 0xb0, v5
	v_add_f32_e32 v30, v30, v34
	v_mul_f32_e32 v34, 0xbf4178ce, v18
	v_add_f32_e32 v23, v23, v24
	v_add_f32_e32 v24, v27, v29
	;; [unrolled: 1-line block ×3, first 2 shown]
	v_mul_f32_e32 v33, 0x3f68dda4, v18
	v_mul_f32_e32 v18, 0xbf7d64f0, v18
	v_or_b32_e32 v5, v5, v25
	v_add_f32_e32 v40, v42, v40
	v_fmamk_f32 v27, v26, 0xbf27a4f4, v34
	v_add_f32_e32 v32, v43, v32
	v_fmamk_f32 v35, v26, 0x3ed4b147, v33
	v_fma_f32 v25, 0x3ed4b147, v26, -v33
	v_fmamk_f32 v33, v26, 0xbe11bafb, v18
	v_fma_f32 v18, 0xbe11bafb, v26, -v18
	v_add_f32_e32 v37, v41, v37
	v_fma_f32 v31, 0x3f575c64, v26, -v31
	v_fma_f32 v34, 0xbf27a4f4, v26, -v34
	v_lshl_add_u32 v5, v5, 2, 0
	v_add_f32_e32 v27, v27, v40
	v_add_f32_e32 v26, v35, v32
	;; [unrolled: 1-line block ×7, first 2 shown]
	ds_write2_b32 v5, v36, v23 offset1:16
	ds_write2_b32 v5, v29, v27 offset0:32 offset1:48
	ds_write2_b32 v5, v26, v25 offset0:64 offset1:80
	ds_write2_b32 v5, v9, v19 offset0:96 offset1:112
	ds_write2_b32 v5, v18, v31 offset0:128 offset1:144
	ds_write_b32 v5, v24 offset:640
.LBB0_41:
	s_or_b32 exec_lo, exec_lo, s1
	v_mov_b32_e32 v5, 0
	s_waitcnt lgkmcnt(0)
	s_barrier
	buffer_gl0_inv
	v_lshlrev_b64 v[18:19], 3, v[4:5]
	v_mov_b32_e32 v4, 0xba2f
	v_mul_u32_u24_sdwa v4, v39, v4 dst_sel:DWORD dst_unused:UNUSED_PAD src0_sel:WORD_0 src1_sel:DWORD
	v_add_co_u32 v18, s0, s8, v18
	v_add_co_ci_u32_e64 v19, s0, s9, v19, s0
	v_lshrrev_b32_e32 v4, 23, v4
	global_load_dwordx4 v[23:26], v[18:19], off offset:1376
	v_mul_lo_u16 v4, 0xb0, v4
	v_sub_nc_u16 v4, v39, v4
	v_and_b32_e32 v4, 0xffff, v4
	v_lshlrev_b32_e32 v9, 4, v4
	v_lshl_add_u32 v4, v4, 2, 0
	global_load_dwordx4 v[27:30], v9, s[8:9] offset:1376
	ds_read2_b32 v[31:32], v7 offset0:32 offset1:208
	ds_read2_b32 v[33:34], v21 offset0:32 offset1:208
	ds_read2_b32 v[35:36], v20 offset0:64 offset1:240
	ds_read2_b32 v[37:38], v1 offset1:176
	ds_read_b32 v9, v1 offset:5632
	s_waitcnt vmcnt(0) lgkmcnt(0)
	s_barrier
	buffer_gl0_inv
	v_add_nc_u32_e32 v40, 0x1000, v4
	v_mul_f32_e32 v41, v32, v24
	v_mul_f32_e32 v42, v11, v24
	;; [unrolled: 1-line block ×8, first 2 shown]
	v_fma_f32 v11, v11, v23, -v41
	v_fmac_f32_e32 v42, v32, v23
	v_fmac_f32_e32 v44, v33, v25
	v_fma_f32 v14, v14, v23, -v45
	v_fmac_f32_e32 v24, v35, v23
	v_fmac_f32_e32 v26, v34, v25
	v_fma_f32 v16, v16, v25, -v43
	v_fma_f32 v17, v17, v25, -v46
	v_add_f32_e32 v23, v12, v11
	v_sub_f32_e32 v32, v42, v44
	v_add_f32_e32 v33, v37, v42
	v_add_f32_e32 v34, v42, v44
	;; [unrolled: 1-line block ×3, first 2 shown]
	v_sub_f32_e32 v42, v24, v26
	v_add_f32_e32 v43, v38, v24
	v_add_f32_e32 v24, v24, v26
	;; [unrolled: 1-line block ×3, first 2 shown]
	v_sub_f32_e32 v11, v11, v16
	v_add_f32_e32 v41, v14, v17
	v_sub_f32_e32 v45, v14, v17
	v_add_f32_e32 v14, v23, v16
	v_add_f32_e32 v16, v35, v17
	v_fmac_f32_e32 v38, -0.5, v24
	v_mul_f32_e32 v17, v36, v28
	v_mul_f32_e32 v24, v9, v30
	v_fma_f32 v12, -0.5, v25, v12
	v_fma_f32 v25, -0.5, v34, v37
	v_mul_f32_e32 v28, v15, v28
	v_mul_f32_e32 v30, v22, v30
	v_fma_f32 v34, v15, v27, -v17
	v_fma_f32 v22, v22, v29, -v24
	v_add_f32_e32 v23, v33, v44
	v_fmac_f32_e32 v28, v36, v27
	v_fmac_f32_e32 v30, v9, v29
	v_fmac_f32_e32 v13, -0.5, v41
	v_add_f32_e32 v9, v34, v22
	v_fmamk_f32 v33, v32, 0x3f5db3d7, v12
	v_add_f32_e32 v15, v10, v34
	v_sub_f32_e32 v17, v28, v30
	v_fmac_f32_e32 v12, 0xbf5db3d7, v32
	v_fmac_f32_e32 v10, -0.5, v9
	v_fmamk_f32 v24, v11, 0xbf5db3d7, v25
	v_fmac_f32_e32 v25, 0x3f5db3d7, v11
	v_fmamk_f32 v11, v42, 0x3f5db3d7, v13
	v_fmac_f32_e32 v13, 0xbf5db3d7, v42
	ds_write2_b32 v1, v14, v33 offset1:176
	ds_write2_b32 v7, v12, v16 offset0:32 offset1:208
	v_add_f32_e32 v9, v15, v22
	v_fmamk_f32 v12, v17, 0x3f5db3d7, v10
	v_fmac_f32_e32 v10, 0xbf5db3d7, v17
	ds_write2_b32 v20, v11, v13 offset0:64 offset1:240
	ds_write2_b32 v40, v9, v12 offset0:32 offset1:208
	ds_write_b32 v4, v10 offset:5632
	s_waitcnt lgkmcnt(0)
	s_barrier
	buffer_gl0_inv
	ds_read2_b32 v[10:11], v1 offset1:176
	ds_read2_b32 v[12:13], v7 offset0:32 offset1:208
	ds_read2_b32 v[14:15], v21 offset0:32 offset1:208
	;; [unrolled: 1-line block ×3, first 2 shown]
	ds_read_b32 v21, v1 offset:5632
	v_add_f32_e32 v27, v31, v28
	v_add_f32_e32 v28, v28, v30
	v_sub_f32_e32 v9, v34, v22
	v_add_f32_e32 v22, v43, v26
	v_fmamk_f32 v26, v45, 0xbf5db3d7, v38
	v_fmac_f32_e32 v38, 0x3f5db3d7, v45
	v_fmac_f32_e32 v31, -0.5, v28
	v_add_f32_e32 v27, v27, v30
	s_waitcnt lgkmcnt(0)
	s_barrier
	buffer_gl0_inv
	v_fmamk_f32 v28, v9, 0xbf5db3d7, v31
	v_fmac_f32_e32 v31, 0x3f5db3d7, v9
	ds_write2_b32 v1, v23, v24 offset1:176
	ds_write2_b32 v7, v25, v22 offset0:32 offset1:208
	ds_write2_b32 v20, v26, v38 offset0:64 offset1:240
	;; [unrolled: 1-line block ×3, first 2 shown]
	ds_write_b32 v4, v31 offset:5632
	s_waitcnt lgkmcnt(0)
	s_barrier
	buffer_gl0_inv
	s_and_saveexec_b32 s0, vcc_lo
	s_cbranch_execz .LBB0_43
; %bb.42:
	v_mov_b32_e32 v9, v5
	v_mov_b32_e32 v7, v5
	v_add_co_u32 v18, vcc_lo, 0x1000, v18
	v_add_co_ci_u32_e32 v19, vcc_lo, 0, v19, vcc_lo
	v_lshlrev_b64 v[8:9], 3, v[8:9]
	v_lshlrev_b64 v[6:7], 3, v[6:7]
	v_mul_hi_u32 v34, 0x3e0f83e1, v39
	global_load_dwordx4 v[22:25], v[18:19], off offset:96
	v_add_nc_u32_e32 v30, 0x500, v1
	v_add_nc_u32_e32 v32, 0x1000, v1
	v_add_co_u32 v4, vcc_lo, s8, v8
	v_add_co_ci_u32_e32 v8, vcc_lo, s9, v9, vcc_lo
	v_add_co_u32 v9, vcc_lo, s8, v6
	v_add_co_ci_u32_e32 v19, vcc_lo, s9, v7, vcc_lo
	;; [unrolled: 2-line block ×4, first 2 shown]
	s_clause 0x1
	global_load_dwordx4 v[6:9], v[6:7], off offset:96
	global_load_dwordx4 v[26:29], v[18:19], off offset:96
	v_add_nc_u32_e32 v4, 0xa00, v1
	ds_read_b32 v20, v1 offset:5632
	ds_read2_b32 v[18:19], v1 offset1:176
	v_mov_b32_e32 v1, v5
	v_add_co_u32 v38, vcc_lo, s2, v2
	v_add_co_ci_u32_e32 v40, vcc_lo, s3, v3, vcc_lo
	ds_read2_b32 v[2:3], v4 offset0:64 offset1:240
	ds_read2_b32 v[30:31], v30 offset0:32 offset1:208
	;; [unrolled: 1-line block ×3, first 2 shown]
	v_lshlrev_b64 v[0:1], 3, v[0:1]
	v_lshrrev_b32_e32 v4, 7, v34
	v_add_co_u32 v0, vcc_lo, v38, v0
	v_mad_u32_u24 v4, 0x420, v4, v39
	v_add_co_ci_u32_e32 v1, vcc_lo, v40, v1, vcc_lo
	v_add_co_u32 v34, vcc_lo, 0x1000, v0
	v_lshlrev_b64 v[4:5], 3, v[4:5]
	v_add_co_ci_u32_e32 v35, vcc_lo, 0, v1, vcc_lo
	v_add_co_u32 v36, vcc_lo, 0x2000, v0
	v_add_co_ci_u32_e32 v37, vcc_lo, 0, v1, vcc_lo
	v_add_co_u32 v4, vcc_lo, v38, v4
	;; [unrolled: 2-line block ×3, first 2 shown]
	v_add_co_ci_u32_e32 v39, vcc_lo, 0, v5, vcc_lo
	s_waitcnt vmcnt(2) lgkmcnt(1)
	v_mul_f32_e32 v40, v31, v23
	s_waitcnt lgkmcnt(0)
	v_mul_f32_e32 v41, v32, v25
	v_mul_f32_e32 v23, v13, v23
	;; [unrolled: 1-line block ×3, first 2 shown]
	v_fma_f32 v40, v13, v22, -v40
	v_fma_f32 v41, v14, v24, -v41
	v_fmac_f32_e32 v23, v22, v31
	v_fmac_f32_e32 v25, v24, v32
	v_add_co_u32 v13, vcc_lo, 0x2000, v4
	v_sub_f32_e32 v31, v40, v41
	v_add_f32_e32 v24, v40, v41
	v_add_f32_e32 v22, v23, v25
	;; [unrolled: 1-line block ×4, first 2 shown]
	v_sub_f32_e32 v42, v23, v25
	v_add_co_ci_u32_e32 v14, vcc_lo, 0, v5, vcc_lo
	v_fma_f32 v23, -0.5, v22, v18
	v_fma_f32 v22, -0.5, v24, v10
	v_add_f32_e32 v25, v25, v32
	v_add_f32_e32 v24, v40, v41
	s_waitcnt vmcnt(1)
	v_mul_f32_e32 v18, v3, v7
	v_mul_f32_e32 v32, v20, v9
	v_mul_f32_e32 v7, v17, v7
	v_mul_f32_e32 v40, v21, v9
	s_waitcnt vmcnt(0)
	v_mul_f32_e32 v41, v2, v27
	v_mul_f32_e32 v43, v33, v29
	;; [unrolled: 1-line block ×4, first 2 shown]
	v_fmamk_f32 v10, v31, 0x3f5db3d7, v23
	v_fmamk_f32 v9, v42, 0xbf5db3d7, v22
	v_fmac_f32_e32 v23, 0xbf5db3d7, v31
	v_fmac_f32_e32 v22, 0x3f5db3d7, v42
	v_fma_f32 v17, v17, v6, -v18
	v_fma_f32 v18, v21, v8, -v32
	v_fmac_f32_e32 v7, v6, v3
	v_fmac_f32_e32 v40, v8, v20
	v_fma_f32 v3, v16, v26, -v41
	v_fma_f32 v15, v15, v28, -v43
	v_fmac_f32_e32 v27, v26, v2
	v_fmac_f32_e32 v29, v28, v33
	global_store_dwordx2 v[0:1], v[24:25], off
	global_store_dwordx2 v[34:35], v[22:23], off offset:128
	global_store_dwordx2 v[36:37], v[9:10], off offset:256
	v_add_f32_e32 v2, v7, v40
	v_add_f32_e32 v6, v17, v18
	;; [unrolled: 1-line block ×5, first 2 shown]
	v_sub_f32_e32 v20, v17, v18
	v_add_f32_e32 v16, v27, v19
	v_add_f32_e32 v17, v11, v3
	v_sub_f32_e32 v22, v3, v15
	v_sub_f32_e32 v23, v27, v29
	v_fma_f32 v3, -0.5, v2, v30
	v_fma_f32 v2, -0.5, v6, v12
	v_add_f32_e32 v6, v8, v18
	v_fma_f32 v9, -0.5, v9, v19
	v_fma_f32 v8, -0.5, v10, v11
	v_sub_f32_e32 v21, v7, v40
	v_add_f32_e32 v7, v7, v30
	v_add_f32_e32 v11, v29, v16
	;; [unrolled: 1-line block ×3, first 2 shown]
	v_fmamk_f32 v18, v22, 0x3f5db3d7, v9
	v_fmamk_f32 v17, v23, 0xbf5db3d7, v8
	v_fmac_f32_e32 v9, 0xbf5db3d7, v22
	v_fmac_f32_e32 v8, 0x3f5db3d7, v23
	v_add_f32_e32 v7, v40, v7
	v_fmamk_f32 v16, v20, 0x3f5db3d7, v3
	v_fmamk_f32 v15, v21, 0xbf5db3d7, v2
	v_fmac_f32_e32 v3, 0xbf5db3d7, v20
	v_fmac_f32_e32 v2, 0x3f5db3d7, v21
	global_store_dwordx2 v[0:1], v[10:11], off offset:1408
	global_store_dwordx2 v[34:35], v[8:9], off offset:1536
	;; [unrolled: 1-line block ×3, first 2 shown]
	global_store_dwordx2 v[4:5], v[6:7], off
	global_store_dwordx2 v[38:39], v[2:3], off offset:128
	global_store_dwordx2 v[13:14], v[15:16], off offset:256
.LBB0_43:
	s_endpgm
	.section	.rodata,"a",@progbits
	.p2align	6, 0x0
	.amdhsa_kernel fft_rtc_fwd_len1584_factors_4_2_2_11_3_3_wgs_176_tpt_176_halfLds_sp_ip_CI_unitstride_sbrr_dirReg
		.amdhsa_group_segment_fixed_size 0
		.amdhsa_private_segment_fixed_size 0
		.amdhsa_kernarg_size 88
		.amdhsa_user_sgpr_count 6
		.amdhsa_user_sgpr_private_segment_buffer 1
		.amdhsa_user_sgpr_dispatch_ptr 0
		.amdhsa_user_sgpr_queue_ptr 0
		.amdhsa_user_sgpr_kernarg_segment_ptr 1
		.amdhsa_user_sgpr_dispatch_id 0
		.amdhsa_user_sgpr_flat_scratch_init 0
		.amdhsa_user_sgpr_private_segment_size 0
		.amdhsa_wavefront_size32 1
		.amdhsa_uses_dynamic_stack 0
		.amdhsa_system_sgpr_private_segment_wavefront_offset 0
		.amdhsa_system_sgpr_workgroup_id_x 1
		.amdhsa_system_sgpr_workgroup_id_y 0
		.amdhsa_system_sgpr_workgroup_id_z 0
		.amdhsa_system_sgpr_workgroup_info 0
		.amdhsa_system_vgpr_workitem_id 0
		.amdhsa_next_free_vgpr 59
		.amdhsa_next_free_sgpr 21
		.amdhsa_reserve_vcc 1
		.amdhsa_reserve_flat_scratch 0
		.amdhsa_float_round_mode_32 0
		.amdhsa_float_round_mode_16_64 0
		.amdhsa_float_denorm_mode_32 3
		.amdhsa_float_denorm_mode_16_64 3
		.amdhsa_dx10_clamp 1
		.amdhsa_ieee_mode 1
		.amdhsa_fp16_overflow 0
		.amdhsa_workgroup_processor_mode 1
		.amdhsa_memory_ordered 1
		.amdhsa_forward_progress 0
		.amdhsa_shared_vgpr_count 0
		.amdhsa_exception_fp_ieee_invalid_op 0
		.amdhsa_exception_fp_denorm_src 0
		.amdhsa_exception_fp_ieee_div_zero 0
		.amdhsa_exception_fp_ieee_overflow 0
		.amdhsa_exception_fp_ieee_underflow 0
		.amdhsa_exception_fp_ieee_inexact 0
		.amdhsa_exception_int_div_zero 0
	.end_amdhsa_kernel
	.text
.Lfunc_end0:
	.size	fft_rtc_fwd_len1584_factors_4_2_2_11_3_3_wgs_176_tpt_176_halfLds_sp_ip_CI_unitstride_sbrr_dirReg, .Lfunc_end0-fft_rtc_fwd_len1584_factors_4_2_2_11_3_3_wgs_176_tpt_176_halfLds_sp_ip_CI_unitstride_sbrr_dirReg
                                        ; -- End function
	.section	.AMDGPU.csdata,"",@progbits
; Kernel info:
; codeLenInByte = 7556
; NumSgprs: 23
; NumVgprs: 59
; ScratchSize: 0
; MemoryBound: 0
; FloatMode: 240
; IeeeMode: 1
; LDSByteSize: 0 bytes/workgroup (compile time only)
; SGPRBlocks: 2
; VGPRBlocks: 7
; NumSGPRsForWavesPerEU: 23
; NumVGPRsForWavesPerEU: 59
; Occupancy: 15
; WaveLimiterHint : 1
; COMPUTE_PGM_RSRC2:SCRATCH_EN: 0
; COMPUTE_PGM_RSRC2:USER_SGPR: 6
; COMPUTE_PGM_RSRC2:TRAP_HANDLER: 0
; COMPUTE_PGM_RSRC2:TGID_X_EN: 1
; COMPUTE_PGM_RSRC2:TGID_Y_EN: 0
; COMPUTE_PGM_RSRC2:TGID_Z_EN: 0
; COMPUTE_PGM_RSRC2:TIDIG_COMP_CNT: 0
	.text
	.p2alignl 6, 3214868480
	.fill 48, 4, 3214868480
	.type	__hip_cuid_ecce9b538673f390,@object ; @__hip_cuid_ecce9b538673f390
	.section	.bss,"aw",@nobits
	.globl	__hip_cuid_ecce9b538673f390
__hip_cuid_ecce9b538673f390:
	.byte	0                               ; 0x0
	.size	__hip_cuid_ecce9b538673f390, 1

	.ident	"AMD clang version 19.0.0git (https://github.com/RadeonOpenCompute/llvm-project roc-6.4.0 25133 c7fe45cf4b819c5991fe208aaa96edf142730f1d)"
	.section	".note.GNU-stack","",@progbits
	.addrsig
	.addrsig_sym __hip_cuid_ecce9b538673f390
	.amdgpu_metadata
---
amdhsa.kernels:
  - .args:
      - .actual_access:  read_only
        .address_space:  global
        .offset:         0
        .size:           8
        .value_kind:     global_buffer
      - .offset:         8
        .size:           8
        .value_kind:     by_value
      - .actual_access:  read_only
        .address_space:  global
        .offset:         16
        .size:           8
        .value_kind:     global_buffer
      - .actual_access:  read_only
        .address_space:  global
        .offset:         24
        .size:           8
        .value_kind:     global_buffer
      - .offset:         32
        .size:           8
        .value_kind:     by_value
      - .actual_access:  read_only
        .address_space:  global
        .offset:         40
        .size:           8
        .value_kind:     global_buffer
      - .actual_access:  read_only
        .address_space:  global
        .offset:         48
        .size:           8
        .value_kind:     global_buffer
      - .offset:         56
        .size:           4
        .value_kind:     by_value
      - .actual_access:  read_only
        .address_space:  global
        .offset:         64
        .size:           8
        .value_kind:     global_buffer
      - .actual_access:  read_only
        .address_space:  global
        .offset:         72
        .size:           8
        .value_kind:     global_buffer
      - .address_space:  global
        .offset:         80
        .size:           8
        .value_kind:     global_buffer
    .group_segment_fixed_size: 0
    .kernarg_segment_align: 8
    .kernarg_segment_size: 88
    .language:       OpenCL C
    .language_version:
      - 2
      - 0
    .max_flat_workgroup_size: 176
    .name:           fft_rtc_fwd_len1584_factors_4_2_2_11_3_3_wgs_176_tpt_176_halfLds_sp_ip_CI_unitstride_sbrr_dirReg
    .private_segment_fixed_size: 0
    .sgpr_count:     23
    .sgpr_spill_count: 0
    .symbol:         fft_rtc_fwd_len1584_factors_4_2_2_11_3_3_wgs_176_tpt_176_halfLds_sp_ip_CI_unitstride_sbrr_dirReg.kd
    .uniform_work_group_size: 1
    .uses_dynamic_stack: false
    .vgpr_count:     59
    .vgpr_spill_count: 0
    .wavefront_size: 32
    .workgroup_processor_mode: 1
amdhsa.target:   amdgcn-amd-amdhsa--gfx1030
amdhsa.version:
  - 1
  - 2
...

	.end_amdgpu_metadata
